;; amdgpu-corpus repo=zjin-lcf/HeCBench kind=compiled arch=gfx1250 opt=O3
	.amdgcn_target "amdgcn-amd-amdhsa--gfx1250"
	.amdhsa_code_object_version 6
	.text
	.protected	_Z7presentiiPKhS0_PhS0_S0_S0_S0_S0_ ; -- Begin function _Z7presentiiPKhS0_PhS0_S0_S0_S0_S0_
	.globl	_Z7presentiiPKhS0_PhS0_S0_S0_S0_S0_
	.p2align	8
	.type	_Z7presentiiPKhS0_PhS0_S0_S0_S0_S0_,@function
_Z7presentiiPKhS0_PhS0_S0_S0_S0_S0_:    ; @_Z7presentiiPKhS0_PhS0_S0_S0_S0_S0_
; %bb.0:
	s_clause 0x1
	s_load_b32 s4, s[0:1], 0x54
	s_load_b64 s[2:3], s[0:1], 0x0
	s_bfe_u32 s5, ttmp6, 0x4000c
	s_and_b32 s6, ttmp6, 15
	s_add_co_i32 s5, s5, 1
	s_getreg_b32 s7, hwreg(HW_REG_IB_STS2, 6, 4)
	s_mul_i32 s5, ttmp9, s5
	s_delay_alu instid0(SALU_CYCLE_1) | instskip(SKIP_4) | instid1(SALU_CYCLE_1)
	s_add_co_i32 s6, s6, s5
	s_wait_kmcnt 0x0
	s_and_b32 s4, s4, 0xffff
	s_cmp_eq_u32 s7, 0
	s_cselect_b32 s5, ttmp9, s6
	v_mad_u32 v16, s5, s4, v0
	s_delay_alu instid0(VALU_DEP_1)
	v_cmp_gt_i32_e32 vcc_lo, s2, v16
	s_mov_b32 s2, 0
	s_and_saveexec_b32 s4, vcc_lo
	s_cbranch_execz .LBB0_7
; %bb.1:
	s_load_b256 s[4:11], s[0:1], 0x8
	v_mul_lo_u32 v0, v16, 10
	s_load_b256 s[12:19], s[0:1], 0x28
	s_cmp_lt_i32 s3, 2
	s_wait_xcnt 0x0
	s_mov_b32 s0, 2
	s_wait_kmcnt 0x0
	global_load_b64 v[20:21], v16, s[4:5] scale_offset
	s_clause 0x1
	global_load_b64 v[4:5], v0, s[6:7]
	global_load_u16 v18, v0, s[6:7] offset:8
	s_wait_loadcnt 0x2
	v_dual_mov_b32 v1, 0 :: v_dual_lshrrev_b32 v2, 8, v20
	s_wait_loadcnt 0x1
	v_lshrrev_b64 v[6:7], 24, v[4:5]
	v_dual_lshrrev_b32 v12, 8, v21 :: v_dual_lshrrev_b32 v14, 16, v21
	s_wait_xcnt 0x0
	v_dual_lshrrev_b32 v0, 24, v21 :: v_dual_lshrrev_b32 v24, 8, v4
	v_dual_lshrrev_b32 v56, 16, v4 :: v_dual_lshrrev_b32 v25, 8, v5
	;; [unrolled: 1-line block ×3, first 2 shown]
	v_dual_lshrrev_b32 v10, 16, v20 :: v_dual_bitop2_b32 v8, v4, v20 bitop3:0x14
	v_dual_lshrrev_b32 v19, 24, v20 :: v_dual_mov_b32 v3, v1
	v_mov_b32_e32 v23, v1
	v_bitop3_b32 v22, v5, 0xff, v21 bitop3:0x48
	v_dual_mov_b32 v13, v1 :: v_dual_mov_b32 v15, v1
	v_xor_b32_e32 v58, v17, v0
	v_and_b32_e32 v0, 0xff, v8
	v_bitop3_b32 v12, v25, 0xff, v12 bitop3:0x48
	v_dual_mov_b32 v9, v1 :: v_dual_mov_b32 v11, v1
	v_bitop3_b32 v8, v24, 0xff, v2 bitop3:0x48
	v_bitop3_b32 v10, v56, 0xff, v10 bitop3:0x48
	;; [unrolled: 1-line block ×3, first 2 shown]
	v_xor_b32_e32 v2, v6, v19
	v_add_nc_u64_e32 v[20:21], s[18:19], v[22:23]
	v_add_nc_u64_e32 v[26:27], s[12:13], v[22:23]
	;; [unrolled: 1-line block ×11, first 2 shown]
	v_and_b32_e32 v2, 0xff, v2
	v_add_nc_u64_e32 v[50:51], s[14:15], v[0:1]
	s_wait_loadcnt 0x0
	v_lshrrev_b16 v57, 3, v18
	v_lshlrev_b16 v59, 5, v17
	v_add_nc_u64_e32 v[54:55], s[18:19], v[10:11]
	global_load_u8 v19, v[20:21], off
	global_load_u8 v60, v[26:27], off
	s_wait_xcnt 0x1
	v_add_nc_u64_e32 v[20:21], s[12:13], v[12:13]
	v_add_nc_u64_e32 v[32:33], s[16:17], v[8:9]
	;; [unrolled: 1-line block ×3, first 2 shown]
	global_load_u8 v61, v[28:29], off
	global_load_u8 v62, v[22:23], off
	;; [unrolled: 1-line block ×3, first 2 shown]
	s_clause 0x3
	global_load_u8 v64, v58, s[12:13]
	global_load_u8 v65, v58, s[14:15]
	; meta instruction
	; meta instruction
	;; [unrolled: 1-line block ×3, first 2 shown]
	global_load_u8 v30, v58, s[16:17]
	global_load_u8 v31, v58, s[18:19]
	global_load_u8 v66, v[32:33], off
	global_load_u8 v67, v[34:35], off
	v_add_nc_u64_e32 v[22:23], s[18:19], v[14:15]
	v_add_nc_u64_e32 v[42:43], s[18:19], v[8:9]
	;; [unrolled: 1-line block ×6, first 2 shown]
	global_load_u8 v32, v[36:37], off
	global_load_u8 v33, v[38:39], off
	v_add_nc_u64_e32 v[26:27], s[16:17], v[0:1]
	v_add_nc_u64_e32 v[12:13], s[14:15], v[12:13]
	;; [unrolled: 1-line block ×3, first 2 shown]
	global_load_u8 v0, v[40:41], off
	global_load_u8 v34, v[44:45], off
	;; [unrolled: 1-line block ×8, first 2 shown]
                                        ; kill: killed $vgpr54_vgpr55
                                        ; kill: killed $vgpr22_vgpr23
                                        ; kill: killed $vgpr46_vgpr47
                                        ; kill: killed $vgpr48_vgpr49
                                        ; kill: killed $vgpr50_vgpr51
                                        ; kill: killed $vgpr20_vgpr21
	global_load_u8 v20, v[26:27], off
	global_load_u8 v21, v[10:11], off
	;; [unrolled: 1-line block ×5, first 2 shown]
	s_wait_xcnt 0x3
	v_add_nc_u64_e32 v[10:11], s[14:15], v[2:3]
	s_wait_xcnt 0x2
	v_add_nc_u64_e32 v[12:13], s[16:17], v[2:3]
	s_wait_xcnt 0x1
	v_bitop3_b16 v15, v59, v57, 31 bitop3:0xf8
	v_add_nc_u64_e32 v[2:3], s[18:19], v[2:3]
	global_load_u8 v14, v[52:53], off
	global_load_u8 v8, v[8:9], off
	;; [unrolled: 1-line block ×6, first 2 shown]
	s_wait_xcnt 0x0
	v_lshrrev_b16 v2, 4, v15
	v_mov_b32_e32 v3, s2
	v_lshlrev_b16 v11, 5, v5
	v_lshrrev_b16 v13, 3, v5
	s_delay_alu instid0(VALU_DEP_4)
	v_dual_lshrrev_b32 v5, 19, v4 :: v_dual_bitop2_b32 v2, 15, v2 bitop3:0x40
	v_lshlrev_b16 v28, 5, v4
	v_lshrrev_b16 v29, 3, v4
	v_lshrrev_b16 v4, 3, v25
	v_lshrrev_b32_e32 v10, 8, v18
	v_and_b32_e32 v2, 0xffff, v2
	v_lshlrev_b16 v44, 5, v18
	v_lshlrev_b16 v18, 5, v24
	;; [unrolled: 1-line block ×3, first 2 shown]
	v_lshrrev_b16 v48, 3, v6
	v_add_nc_u64_e32 v[2:3], s[10:11], v[2:3]
	v_bitop3_b16 v27, v11, v4, 31 bitop3:0xf8
	v_bitop3_b16 v18, v18, v5, 31 bitop3:0xf8
	v_lshrrev_b16 v24, 3, v24
	v_lshlrev_b16 v45, 5, v56
	v_lshlrev_b16 v46, 5, v10
	v_lshrrev_b16 v10, 3, v10
	global_load_u8 v12, v[2:3], off
	s_wait_xcnt 0x0
	v_lshlrev_b32_e32 v2, 3, v16
	s_wait_loadcnt 0x1d
	v_and_b32_e32 v49, 0xffffffc0, v62
	s_wait_loadcnt 0x1c
	v_and_b32_e32 v50, 0xc0, v63
	;; [unrolled: 2-line block ×3, first 2 shown]
	s_wait_loadcnt 0x1a
	v_dual_ashrrev_i32 v3, 31, v2 :: v_dual_bitop2_b32 v5, 3, v65 bitop3:0x40
	v_and_b32_e32 v19, 0xc0, v19
	s_wait_loadcnt 0x19
	v_and_b32_e32 v6, 3, v30
	s_wait_loadcnt 0x18
	v_and_b32_e32 v11, 3, v31
	v_and_b32_e32 v30, 0xffffffc0, v60
	;; [unrolled: 1-line block ×3, first 2 shown]
	s_wait_loadcnt 0x17
	v_and_b32_e32 v51, 48, v66
	s_wait_loadcnt 0x16
	v_and_b32_e32 v52, 12, v67
	v_add_nc_u64_e32 v[2:3], s[8:9], v[2:3]
	s_wait_loadcnt 0x11
	v_bitop3_b16 v30, v35, v30, 48 bitop3:0xec
	s_wait_loadcnt 0xf
	v_and_b32_e32 v35, 0xffffffc0, v37
	v_bitop3_b16 v19, v32, v19, 48 bitop3:0xec
	v_and_b32_e32 v32, 12, v33
	s_wait_loadcnt 0xd
	v_bitop3_b16 v31, v39, v31, 48 bitop3:0xec
	s_wait_loadcnt 0xc
	v_and_b32_e32 v37, 12, v40
	v_and_b32_e32 v0, 0xffffffc0, v0
	;; [unrolled: 1-line block ×4, first 2 shown]
	s_wait_loadcnt 0xb
	v_and_b32_e32 v20, 0xffffffc0, v20
	s_wait_loadcnt 0x9
	v_bitop3_b16 v22, v22, v49, 48 bitop3:0xec
	s_wait_loadcnt 0x8
	v_and_b32_e32 v23, 12, v23
	v_and_b32_e32 v36, 12, v38
	;; [unrolled: 1-line block ×3, first 2 shown]
	v_bitop3_b16 v19, v19, v4, v32 bitop3:0xfe
	s_wait_loadcnt 0x7
	v_bitop3_b16 v32, v41, v0, 48 bitop3:0xec
	v_bitop3_b16 v4, v30, v5, v34 bitop3:0xfe
	s_wait_loadcnt 0x6
	v_bitop3_b16 v14, v14, v35, 48 bitop3:0xec
	;; [unrolled: 3-line block ×3, first 2 shown]
	v_bitop3_b16 v0, v22, v11, v23 bitop3:0xfe
	s_wait_loadcnt 0x4
	v_and_b32_e32 v11, 3, v9
	s_wait_loadcnt 0x3
	v_and_b32_e32 v9, 3, v26
	;; [unrolled: 2-line block ×4, first 2 shown]
	v_bitop3_b16 v38, v51, v52, v50 bitop3:0xfe
	v_lshlrev_b16 v22, 8, v5
	v_lshlrev_b16 v23, 8, v0
	;; [unrolled: 1-line block ×4, first 2 shown]
	v_bitop3_b16 v8, v14, v8, v36 bitop3:0xfe
	v_bitop3_b16 v6, v6, v20, v21 bitop3:0xfe
	v_bitop3_b16 v9, v32, v9, v33 bitop3:0xfe
	v_bitop3_b16 v11, v38, v19, v11 bitop3:0xfe
	v_bitop3_b16 v20, v28, v24, 31 bitop3:0xf8
	v_bitop3_b16 v14, v8, v22, 0xff bitop3:0xec
	v_bitop3_b16 v19, v6, v23, 0xff bitop3:0xec
	v_bitop3_b16 v21, v9, v26, 0xff bitop3:0xec
	v_and_b32_e32 v24, 0xffff, v11
	v_bitop3_b16 v23, v46, v29, 31 bitop3:0xf8
	v_and_b32_e32 v11, 0xffff, v14
	s_delay_alu instid0(VALU_DEP_4) | instskip(SKIP_3) | instid1(VALU_DEP_4)
	v_dual_lshlrev_b32 v14, 16, v19 :: v_dual_lshlrev_b32 v26, 16, v21
	v_bitop3_b16 v21, v44, v10, 31 bitop3:0xf8
	v_bitop3_b16 v22, v47, v13, 31 bitop3:0xf8
	;; [unrolled: 1-line block ×3, first 2 shown]
	v_or_b32_e32 v11, v11, v14
	v_or_b32_e32 v10, v24, v26
	s_wait_loadcnt 0x0
	v_bitop3_b16 v24, v15, v12, 15 bitop3:0xec
	global_store_b64 v16, v[10:11], s[8:9] scale_offset
	s_cbranch_scc1 .LBB0_5
; %bb.2:
	global_load_u16 v10, v[2:3], off
	v_lshrrev_b16 v11, 3, v7
	v_lshlrev_b16 v12, 5, v25
	v_lshrrev_b16 v13, 3, v17
	v_lshlrev_b16 v7, 5, v7
	s_mov_b32 s1, 0
	v_and_b32_e32 v11, 31, v11
	s_delay_alu instid0(VALU_DEP_2) | instskip(NEXT) | instid1(VALU_DEP_2)
	v_or_b32_e32 v26, v7, v13
	v_bitop3_b16 v25, v12, 0xff80, v11 bitop3:0x36
	s_wait_loadcnt 0x0
	v_lshrrev_b16 v7, 8, v10
.LBB0_3:                                ; =>This Inner Loop Header: Depth=1
	s_delay_alu instid0(VALU_DEP_1) | instskip(NEXT) | instid1(VALU_DEP_2)
	v_xor_b32_e32 v10, v10, v24
	v_dual_mov_b32 v7, v1 :: v_dual_bitop2_b32 v12, v7, v21 bitop3:0x14
	v_xor_b32_e32 v16, v4, v20
	v_dual_mov_b32 v29, s1 :: v_dual_bitop2_b32 v14, v9, v23 bitop3:0x14
	v_dual_mov_b32 v13, v1 :: v_dual_bitop2_b32 v28, v8, v18 bitop3:0x14
	v_xor_b32_e32 v30, v5, v19
	v_dual_mov_b32 v15, v1 :: v_dual_bitop2_b32 v31, v6, v22 bitop3:0x14
	v_dual_mov_b32 v5, v1 :: v_dual_mov_b32 v9, v1
	v_xor_b32_e32 v44, v0, v27
	v_and_b32_e32 v0, 0xff, v10
	v_and_b32_e32 v4, 0xff, v12
	;; [unrolled: 1-line block ×6, first 2 shown]
	v_dual_mov_b32 v17, v1 :: v_dual_mov_b32 v11, v1
	v_and_b32_e32 v16, 0xff, v31
	v_add_nc_u64_e32 v[30:31], s[18:19], v[0:1]
	v_add_nc_u64_e32 v[32:33], s[16:17], v[4:5]
	v_add_nc_u64_e32 v[36:37], s[12:13], v[8:9]
	v_add_nc_u64_e32 v[34:35], s[14:15], v[6:7]
	v_add_nc_u64_e32 v[38:39], s[18:19], v[12:13]
	v_add_nc_u64_e32 v[40:41], s[16:17], v[14:15]
	v_add_nc_u64_e32 v[42:43], s[14:15], v[16:17]
	v_lshrrev_b16 v60, 3, v25
	v_lshlrev_b16 v28, 5, v27
	v_add_nc_u64_e32 v[46:47], s[18:19], v[4:5]
	v_add_nc_u64_e32 v[50:51], s[14:15], v[8:9]
	;; [unrolled: 1-line block ×3, first 2 shown]
	global_load_u8 v61, v[30:31], off
	s_wait_xcnt 0x0
	v_add_nc_u64_e32 v[30:31], s[12:13], v[4:5]
	global_load_u8 v62, v[32:33], off
	global_load_u8 v63, v[34:35], off
	;; [unrolled: 1-line block ×4, first 2 shown]
	s_wait_xcnt 0x2
	v_add_nc_u64_e32 v[34:35], s[16:17], v[8:9]
	s_wait_xcnt 0x0
	v_add_nc_u64_e32 v[38:39], s[12:13], v[14:15]
	v_add_nc_u64_e32 v[4:5], s[14:15], v[4:5]
	;; [unrolled: 1-line block ×6, first 2 shown]
	global_load_u8 v66, v[40:41], off
	global_load_u8 v67, v[42:43], off
	v_add_nc_u64_e32 v[36:37], s[14:15], v[12:13]
	s_wait_xcnt 0x1
	v_add_nc_u64_e32 v[40:41], s[18:19], v[16:17]
	v_bitop3_b16 v60, v28, v60, 31 bitop3:0xf8
	v_and_b32_e32 v10, 0xff, v44
	v_add_nc_u64_e32 v[44:45], s[12:13], v[0:1]
	v_add_nc_u64_e32 v[58:59], s[14:15], v[0:1]
	global_load_u8 v68, v[46:47], off
	global_load_u8 v69, v[48:49], off
	global_load_u8 v46, v[50:51], off
	global_load_u8 v47, v[52:53], off
	global_load_u8 v48, v[54:55], off
	global_load_u8 v49, v[56:57], off
	v_add_nc_u64_e32 v[42:43], s[16:17], v[0:1]
	global_load_u8 v0, v[30:31], off
	global_load_u8 v50, v[32:33], off
	global_load_u8 v51, v[34:35], off
	global_load_u8 v52, v[36:37], off
	global_load_u8 v36, v[38:39], off
	global_load_u8 v37, v[40:41], off
	global_load_u8 v38, v[4:5], off
	s_wait_xcnt 0x0
	v_lshrrev_b16 v4, 4, v60
	v_add_nc_u64_e32 v[6:7], s[12:13], v[6:7]
	v_add_nc_u64_e32 v[30:31], s[12:13], v[10:11]
	;; [unrolled: 1-line block ×4, first 2 shown]
	v_and_b32_e32 v4, 15, v4
	v_add_nc_u64_e32 v[32:33], s[14:15], v[10:11]
	v_add_nc_u64_e32 v[14:15], s[14:15], v[14:15]
	;; [unrolled: 1-line block ×4, first 2 shown]
	v_and_b32_e32 v28, 0xffff, v4
	v_add_nc_u64_e32 v[16:17], s[12:13], v[16:17]
	global_load_u8 v39, v[6:7], off
	global_load_u8 v40, v[8:9], off
	;; [unrolled: 1-line block ×4, first 2 shown]
                                        ; kill: killed $vgpr12_vgpr13
                                        ; kill: killed $vgpr14_vgpr15
                                        ; kill: killed $vgpr6_vgpr7
                                        ; kill: killed $vgpr8_vgpr9
	s_clause 0x2
	global_load_u8 v6, v[16:17], off
	global_load_u8 v7, v[30:31], off
	;; [unrolled: 1-line block ×3, first 2 shown]
	s_clause 0x1
	global_load_u8 v9, v[32:33], off
	global_load_u8 v12, v[58:59], off
	s_clause 0x1
	global_load_u8 v13, v[34:35], off
	global_load_u8 v14, v[42:43], off
	s_lshl_b32 s2, s0, 2
	v_add_nc_u64_e32 v[4:5], s[10:11], v[28:29]
	global_load_u8 v15, v[10:11], off
	global_load_u8 v16, v[4:5], off
	s_wait_xcnt 0x1
	v_lshrrev_b16 v11, 3, v18
	v_lshlrev_b16 v17, 5, v20
	v_xor_b32_e32 v31, s2, v19
	s_wait_xcnt 0x0
	v_lshlrev_b16 v4, 5, v22
	v_lshrrev_b16 v5, 3, v22
	v_lshlrev_b16 v10, 5, v18
	v_lshrrev_b16 v18, 3, v20
	v_lshlrev_b16 v20, 5, v23
	v_lshlrev_b16 v28, 5, v21
	v_lshrrev_b16 v21, 3, v21
	v_lshlrev_b16 v29, 5, v24
	;; [unrolled: 3-line block ×3, first 2 shown]
	v_bitop3_b16 v22, v17, v11, 31 bitop3:0xf8
	v_lshlrev_b16 v11, 5, v31
	v_lshrrev_b16 v27, 3, v27
	v_bitop3_b16 v19, v20, v18, 31 bitop3:0xf8
	v_bitop3_b16 v20, v29, v21, 31 bitop3:0xf8
	;; [unrolled: 1-line block ×3, first 2 shown]
	v_lshrrev_b16 v17, 3, v31
	v_bitop3_b16 v25, v11, v5, 31 bitop3:0xf8
	v_lshrrev_b16 v23, 3, v23
	v_lshrrev_b16 v24, 3, v24
	v_bitop3_b16 v26, v4, v27, 31 bitop3:0xf8
	v_bitop3_b16 v27, v10, v17, 31 bitop3:0xf8
	s_add_co_i32 s0, s0, 1
	v_bitop3_b16 v18, v28, v23, 31 bitop3:0xf8
	v_bitop3_b16 v23, v30, v24, 31 bitop3:0xf8
	s_and_b32 s2, s0, 0xff
	s_delay_alu instid0(SALU_CYCLE_1)
	s_cmp_ge_u32 s3, s2
	s_wait_loadcnt 0x20
	v_and_b32_e32 v4, 0xffffffc0, v61
	s_wait_loadcnt 0x1e
	v_and_b32_e32 v5, 12, v63
	s_wait_loadcnt 0x1c
	v_and_b32_e32 v11, 0xffffffc0, v65
	v_and_b32_e32 v10, 3, v64
	v_bitop3_b16 v4, v62, v4, 48 bitop3:0xec
	s_wait_loadcnt 0x1b
	s_delay_alu instid0(VALU_DEP_3)
	v_bitop3_b16 v11, v66, v11, 48 bitop3:0xec
	s_wait_loadcnt 0x1a
	v_and_b32_e32 v17, 12, v67
	v_bitop3_b16 v10, v4, v10, v5 bitop3:0xfe
	s_wait_loadcnt 0x18
	v_and_b32_e32 v24, 12, v69
	s_wait_loadcnt 0x16
	v_and_b32_e32 v29, 0xffffffc0, v47
	v_and_b32_e32 v28, 3, v46
	s_wait_loadcnt 0x14
	v_and_b32_e32 v30, 12, v49
	s_wait_loadcnt 0x12
	;; [unrolled: 2-line block ×3, first 2 shown]
	v_and_b32_e32 v33, 0xffffffc0, v52
	v_and_b32_e32 v32, 3, v51
	s_wait_loadcnt 0xe
	v_and_b32_e32 v34, 12, v37
	v_bitop3_b16 v29, v48, v29, 48 bitop3:0xec
	v_bitop3_b16 v33, v36, v33, 48 bitop3:0xec
	s_wait_loadcnt 0xc
	v_and_b32_e32 v35, 12, v39
	s_wait_loadcnt 0xb
	v_and_b32_e32 v37, 3, v40
	;; [unrolled: 2-line block ×7, first 2 shown]
	v_and_b32_e32 v6, 12, v6
	s_wait_loadcnt 0x2
	v_and_b32_e32 v14, 0xffffffc0, v14
	v_and_b32_e32 v13, 3, v13
	v_bitop3_b16 v36, v53, v39, 48 bitop3:0xec
	v_bitop3_b16 v7, v11, v7, v17 bitop3:0xfe
	;; [unrolled: 1-line block ×5, first 2 shown]
	s_wait_loadcnt 0x1
	v_and_b32_e32 v15, 3, v15
	v_bitop3_b16 v4, v29, v9, v30 bitop3:0xfe
	v_bitop3_b16 v5, v33, v13, v34 bitop3:0xfe
	;; [unrolled: 1-line block ×6, first 2 shown]
	s_wait_loadcnt 0x0
	v_bitop3_b16 v24, v16, v60, 15 bitop3:0xf8
	s_cbranch_scc1 .LBB0_3
; %bb.4:
	v_perm_b32 v1, v8, v5, 0xc0c0004
	v_perm_b32 v11, v6, v0, 0xc0c0004
	v_perm_b32 v7, v10, v7, 0xc0c0004
	v_perm_b32 v10, v9, v4, 0xc0c0004
	s_delay_alu instid0(VALU_DEP_3) | instskip(NEXT) | instid1(VALU_DEP_2)
	v_lshl_or_b32 v11, v11, 16, v1
	v_lshl_or_b32 v10, v10, 16, v7
	global_store_b64 v[2:3], v[10:11], off
.LBB0_5:
	s_cmp_lg_u32 s3, 31
	s_cbranch_scc1 .LBB0_7
; %bb.6:
	global_load_u16 v1, v[2:3], off
	v_xor_b32_e32 v0, v0, v27
	v_xor_b32_e32 v4, v4, v20
	;; [unrolled: 1-line block ×4, first 2 shown]
	s_delay_alu instid0(VALU_DEP_4) | instskip(NEXT) | instid1(VALU_DEP_4)
	v_lshlrev_b16 v0, 8, v0
	v_lshlrev_b16 v4, 8, v4
	s_delay_alu instid0(VALU_DEP_2) | instskip(NEXT) | instid1(VALU_DEP_1)
	v_bitop3_b16 v0, v6, v0, 0xff bitop3:0xec
	v_dual_lshlrev_b32 v0, 16, v0 :: v_dual_bitop2_b32 v7, v9, v23 bitop3:0x14
	s_delay_alu instid0(VALU_DEP_1) | instskip(NEXT) | instid1(VALU_DEP_1)
	v_bitop3_b16 v4, v7, v4, 0xff bitop3:0xec
	v_dual_lshlrev_b32 v4, 16, v4 :: v_dual_bitop2_b32 v5, v5, v19 bitop3:0x14
	s_delay_alu instid0(VALU_DEP_1) | instskip(NEXT) | instid1(VALU_DEP_1)
	v_lshlrev_b16 v5, 8, v5
	v_bitop3_b16 v5, v8, v5, 0xff bitop3:0xec
	s_delay_alu instid0(VALU_DEP_1) | instskip(SKIP_3) | instid1(VALU_DEP_2)
	v_and_b32_e32 v5, 0xffff, v5
	s_wait_loadcnt 0x0
	v_lshrrev_b16 v9, 8, v1
	v_xor_b32_e32 v1, v1, v24
	v_xor_b32_e32 v9, v9, v21
	s_delay_alu instid0(VALU_DEP_1) | instskip(NEXT) | instid1(VALU_DEP_1)
	v_lshlrev_b16 v9, 8, v9
	v_bitop3_b16 v1, v1, v9, 0xff bitop3:0xec
	s_delay_alu instid0(VALU_DEP_1) | instskip(SKIP_1) | instid1(VALU_DEP_2)
	v_and_b32_e32 v6, 0xffff, v1
	v_or_b32_e32 v1, v5, v0
	v_or_b32_e32 v0, v6, v4
	global_store_b64 v[2:3], v[0:1], off
.LBB0_7:
	s_sendmsg sendmsg(MSG_DEALLOC_VGPRS)
	s_endpgm
	.section	.rodata,"a",@progbits
	.p2align	6, 0x0
	.amdhsa_kernel _Z7presentiiPKhS0_PhS0_S0_S0_S0_S0_
		.amdhsa_group_segment_fixed_size 0
		.amdhsa_private_segment_fixed_size 0
		.amdhsa_kernarg_size 328
		.amdhsa_user_sgpr_count 2
		.amdhsa_user_sgpr_dispatch_ptr 0
		.amdhsa_user_sgpr_queue_ptr 0
		.amdhsa_user_sgpr_kernarg_segment_ptr 1
		.amdhsa_user_sgpr_dispatch_id 0
		.amdhsa_user_sgpr_kernarg_preload_length 0
		.amdhsa_user_sgpr_kernarg_preload_offset 0
		.amdhsa_user_sgpr_private_segment_size 0
		.amdhsa_wavefront_size32 1
		.amdhsa_uses_dynamic_stack 0
		.amdhsa_enable_private_segment 0
		.amdhsa_system_sgpr_workgroup_id_x 1
		.amdhsa_system_sgpr_workgroup_id_y 0
		.amdhsa_system_sgpr_workgroup_id_z 0
		.amdhsa_system_sgpr_workgroup_info 0
		.amdhsa_system_vgpr_workitem_id 0
		.amdhsa_next_free_vgpr 70
		.amdhsa_next_free_sgpr 20
		.amdhsa_named_barrier_count 0
		.amdhsa_reserve_vcc 1
		.amdhsa_float_round_mode_32 0
		.amdhsa_float_round_mode_16_64 0
		.amdhsa_float_denorm_mode_32 3
		.amdhsa_float_denorm_mode_16_64 3
		.amdhsa_fp16_overflow 0
		.amdhsa_memory_ordered 1
		.amdhsa_forward_progress 1
		.amdhsa_inst_pref_size 27
		.amdhsa_round_robin_scheduling 0
		.amdhsa_exception_fp_ieee_invalid_op 0
		.amdhsa_exception_fp_denorm_src 0
		.amdhsa_exception_fp_ieee_div_zero 0
		.amdhsa_exception_fp_ieee_overflow 0
		.amdhsa_exception_fp_ieee_underflow 0
		.amdhsa_exception_fp_ieee_inexact 0
		.amdhsa_exception_int_div_zero 0
	.end_amdhsa_kernel
	.text
.Lfunc_end0:
	.size	_Z7presentiiPKhS0_PhS0_S0_S0_S0_S0_, .Lfunc_end0-_Z7presentiiPKhS0_PhS0_S0_S0_S0_S0_
                                        ; -- End function
	.set _Z7presentiiPKhS0_PhS0_S0_S0_S0_S0_.num_vgpr, 70
	.set _Z7presentiiPKhS0_PhS0_S0_S0_S0_S0_.num_agpr, 0
	.set _Z7presentiiPKhS0_PhS0_S0_S0_S0_S0_.numbered_sgpr, 20
	.set _Z7presentiiPKhS0_PhS0_S0_S0_S0_S0_.num_named_barrier, 0
	.set _Z7presentiiPKhS0_PhS0_S0_S0_S0_S0_.private_seg_size, 0
	.set _Z7presentiiPKhS0_PhS0_S0_S0_S0_S0_.uses_vcc, 1
	.set _Z7presentiiPKhS0_PhS0_S0_S0_S0_S0_.uses_flat_scratch, 0
	.set _Z7presentiiPKhS0_PhS0_S0_S0_S0_S0_.has_dyn_sized_stack, 0
	.set _Z7presentiiPKhS0_PhS0_S0_S0_S0_S0_.has_recursion, 0
	.set _Z7presentiiPKhS0_PhS0_S0_S0_S0_S0_.has_indirect_call, 0
	.section	.AMDGPU.csdata,"",@progbits
; Kernel info:
; codeLenInByte = 3424
; TotalNumSgprs: 22
; NumVgprs: 70
; ScratchSize: 0
; MemoryBound: 0
; FloatMode: 240
; IeeeMode: 1
; LDSByteSize: 0 bytes/workgroup (compile time only)
; SGPRBlocks: 0
; VGPRBlocks: 4
; NumSGPRsForWavesPerEU: 22
; NumVGPRsForWavesPerEU: 70
; NamedBarCnt: 0
; Occupancy: 12
; WaveLimiterHint : 1
; COMPUTE_PGM_RSRC2:SCRATCH_EN: 0
; COMPUTE_PGM_RSRC2:USER_SGPR: 2
; COMPUTE_PGM_RSRC2:TRAP_HANDLER: 0
; COMPUTE_PGM_RSRC2:TGID_X_EN: 1
; COMPUTE_PGM_RSRC2:TGID_Y_EN: 0
; COMPUTE_PGM_RSRC2:TGID_Z_EN: 0
; COMPUTE_PGM_RSRC2:TIDIG_COMP_CNT: 0
	.text
	.p2alignl 7, 3214868480
	.fill 96, 4, 3214868480
	.section	.AMDGPU.gpr_maximums,"",@progbits
	.set amdgpu.max_num_vgpr, 0
	.set amdgpu.max_num_agpr, 0
	.set amdgpu.max_num_sgpr, 0
	.text
	.type	__hip_cuid_1f5a21a8f8a28364,@object ; @__hip_cuid_1f5a21a8f8a28364
	.section	.bss,"aw",@nobits
	.globl	__hip_cuid_1f5a21a8f8a28364
__hip_cuid_1f5a21a8f8a28364:
	.byte	0                               ; 0x0
	.size	__hip_cuid_1f5a21a8f8a28364, 1

	.ident	"AMD clang version 22.0.0git (https://github.com/RadeonOpenCompute/llvm-project roc-7.2.4 26084 f58b06dce1f9c15707c5f808fd002e18c2accf7e)"
	.section	".note.GNU-stack","",@progbits
	.addrsig
	.addrsig_sym __hip_cuid_1f5a21a8f8a28364
	.amdgpu_metadata
---
amdhsa.kernels:
  - .args:
      - .offset:         0
        .size:           4
        .value_kind:     by_value
      - .offset:         4
        .size:           4
        .value_kind:     by_value
      - .actual_access:  read_only
        .address_space:  global
        .offset:         8
        .size:           8
        .value_kind:     global_buffer
      - .actual_access:  read_only
        .address_space:  global
        .offset:         16
        .size:           8
        .value_kind:     global_buffer
      - .address_space:  global
        .offset:         24
        .size:           8
        .value_kind:     global_buffer
      - .actual_access:  read_only
        .address_space:  global
        .offset:         32
        .size:           8
        .value_kind:     global_buffer
      - .actual_access:  read_only
        .address_space:  global
        .offset:         40
        .size:           8
        .value_kind:     global_buffer
      - .actual_access:  read_only
        .address_space:  global
        .offset:         48
        .size:           8
        .value_kind:     global_buffer
      - .actual_access:  read_only
        .address_space:  global
        .offset:         56
        .size:           8
        .value_kind:     global_buffer
      - .actual_access:  read_only
        .address_space:  global
        .offset:         64
        .size:           8
        .value_kind:     global_buffer
      - .offset:         72
        .size:           4
        .value_kind:     hidden_block_count_x
      - .offset:         76
        .size:           4
        .value_kind:     hidden_block_count_y
      - .offset:         80
        .size:           4
        .value_kind:     hidden_block_count_z
      - .offset:         84
        .size:           2
        .value_kind:     hidden_group_size_x
      - .offset:         86
        .size:           2
        .value_kind:     hidden_group_size_y
      - .offset:         88
        .size:           2
        .value_kind:     hidden_group_size_z
      - .offset:         90
        .size:           2
        .value_kind:     hidden_remainder_x
      - .offset:         92
        .size:           2
        .value_kind:     hidden_remainder_y
      - .offset:         94
        .size:           2
        .value_kind:     hidden_remainder_z
      - .offset:         112
        .size:           8
        .value_kind:     hidden_global_offset_x
      - .offset:         120
        .size:           8
        .value_kind:     hidden_global_offset_y
      - .offset:         128
        .size:           8
        .value_kind:     hidden_global_offset_z
      - .offset:         136
        .size:           2
        .value_kind:     hidden_grid_dims
    .group_segment_fixed_size: 0
    .kernarg_segment_align: 8
    .kernarg_segment_size: 328
    .language:       OpenCL C
    .language_version:
      - 2
      - 0
    .max_flat_workgroup_size: 1024
    .name:           _Z7presentiiPKhS0_PhS0_S0_S0_S0_S0_
    .private_segment_fixed_size: 0
    .sgpr_count:     22
    .sgpr_spill_count: 0
    .symbol:         _Z7presentiiPKhS0_PhS0_S0_S0_S0_S0_.kd
    .uniform_work_group_size: 1
    .uses_dynamic_stack: false
    .vgpr_count:     70
    .vgpr_spill_count: 0
    .wavefront_size: 32
amdhsa.target:   amdgcn-amd-amdhsa--gfx1250
amdhsa.version:
  - 1
  - 2
...

	.end_amdgpu_metadata
